;; amdgpu-corpus repo=ROCm/rocFFT kind=compiled arch=gfx1201 opt=O3
	.text
	.amdgcn_target "amdgcn-amd-amdhsa--gfx1201"
	.amdhsa_code_object_version 6
	.protected	fft_rtc_fwd_len3888_factors_16_3_3_3_3_3_wgs_324_tpt_324_halfLds_half_op_CI_CI_unitstride_sbrr_R2C_dirReg ; -- Begin function fft_rtc_fwd_len3888_factors_16_3_3_3_3_3_wgs_324_tpt_324_halfLds_half_op_CI_CI_unitstride_sbrr_R2C_dirReg
	.globl	fft_rtc_fwd_len3888_factors_16_3_3_3_3_3_wgs_324_tpt_324_halfLds_half_op_CI_CI_unitstride_sbrr_R2C_dirReg
	.p2align	8
	.type	fft_rtc_fwd_len3888_factors_16_3_3_3_3_3_wgs_324_tpt_324_halfLds_half_op_CI_CI_unitstride_sbrr_R2C_dirReg,@function
fft_rtc_fwd_len3888_factors_16_3_3_3_3_3_wgs_324_tpt_324_halfLds_half_op_CI_CI_unitstride_sbrr_R2C_dirReg: ; @fft_rtc_fwd_len3888_factors_16_3_3_3_3_3_wgs_324_tpt_324_halfLds_half_op_CI_CI_unitstride_sbrr_R2C_dirReg
; %bb.0:
	s_clause 0x2
	s_load_b128 s[8:11], s[0:1], 0x0
	s_load_b128 s[4:7], s[0:1], 0x58
	;; [unrolled: 1-line block ×3, first 2 shown]
	v_mul_u32_u24_e32 v1, 0x195, v0
	v_mov_b32_e32 v3, 0
	v_mov_b32_e32 v7, 0
	;; [unrolled: 1-line block ×3, first 2 shown]
	s_delay_alu instid0(VALU_DEP_4) | instskip(NEXT) | instid1(VALU_DEP_1)
	v_lshrrev_b32_e32 v1, 17, v1
	v_dual_mov_b32 v10, v3 :: v_dual_add_nc_u32 v9, ttmp9, v1
	s_wait_kmcnt 0x0
	v_cmp_lt_u64_e64 s2, s[10:11], 2
	s_delay_alu instid0(VALU_DEP_1)
	s_and_b32 vcc_lo, exec_lo, s2
	s_cbranch_vccnz .LBB0_8
; %bb.1:
	s_load_b64 s[2:3], s[0:1], 0x10
	v_mov_b32_e32 v7, 0
	v_mov_b32_e32 v8, 0
	s_delay_alu instid0(VALU_DEP_2)
	v_mov_b32_e32 v1, v7
	s_add_nc_u64 s[16:17], s[14:15], 8
	s_add_nc_u64 s[18:19], s[12:13], 8
	s_mov_b64 s[20:21], 1
	v_mov_b32_e32 v2, v8
	s_wait_kmcnt 0x0
	s_add_nc_u64 s[22:23], s[2:3], 8
	s_mov_b32 s3, 0
.LBB0_2:                                ; =>This Inner Loop Header: Depth=1
	s_load_b64 s[24:25], s[22:23], 0x0
                                        ; implicit-def: $vgpr5_vgpr6
	s_mov_b32 s2, exec_lo
	s_wait_kmcnt 0x0
	v_or_b32_e32 v4, s25, v10
	s_delay_alu instid0(VALU_DEP_1)
	v_cmpx_ne_u64_e32 0, v[3:4]
	s_wait_alu 0xfffe
	s_xor_b32 s26, exec_lo, s2
	s_cbranch_execz .LBB0_4
; %bb.3:                                ;   in Loop: Header=BB0_2 Depth=1
	s_cvt_f32_u32 s2, s24
	s_cvt_f32_u32 s27, s25
	s_sub_nc_u64 s[30:31], 0, s[24:25]
	s_wait_alu 0xfffe
	s_delay_alu instid0(SALU_CYCLE_1) | instskip(SKIP_1) | instid1(SALU_CYCLE_2)
	s_fmamk_f32 s2, s27, 0x4f800000, s2
	s_wait_alu 0xfffe
	v_s_rcp_f32 s2, s2
	s_delay_alu instid0(TRANS32_DEP_1) | instskip(SKIP_1) | instid1(SALU_CYCLE_2)
	s_mul_f32 s2, s2, 0x5f7ffffc
	s_wait_alu 0xfffe
	s_mul_f32 s27, s2, 0x2f800000
	s_wait_alu 0xfffe
	s_delay_alu instid0(SALU_CYCLE_2) | instskip(SKIP_1) | instid1(SALU_CYCLE_2)
	s_trunc_f32 s27, s27
	s_wait_alu 0xfffe
	s_fmamk_f32 s2, s27, 0xcf800000, s2
	s_cvt_u32_f32 s29, s27
	s_wait_alu 0xfffe
	s_delay_alu instid0(SALU_CYCLE_1) | instskip(SKIP_1) | instid1(SALU_CYCLE_2)
	s_cvt_u32_f32 s28, s2
	s_wait_alu 0xfffe
	s_mul_u64 s[34:35], s[30:31], s[28:29]
	s_wait_alu 0xfffe
	s_mul_hi_u32 s37, s28, s35
	s_mul_i32 s36, s28, s35
	s_mul_hi_u32 s2, s28, s34
	s_mul_i32 s33, s29, s34
	s_wait_alu 0xfffe
	s_add_nc_u64 s[36:37], s[2:3], s[36:37]
	s_mul_hi_u32 s27, s29, s34
	s_mul_hi_u32 s38, s29, s35
	s_add_co_u32 s2, s36, s33
	s_wait_alu 0xfffe
	s_add_co_ci_u32 s2, s37, s27
	s_mul_i32 s34, s29, s35
	s_add_co_ci_u32 s35, s38, 0
	s_wait_alu 0xfffe
	s_add_nc_u64 s[34:35], s[2:3], s[34:35]
	s_wait_alu 0xfffe
	v_add_co_u32 v4, s2, s28, s34
	s_delay_alu instid0(VALU_DEP_1) | instskip(SKIP_1) | instid1(VALU_DEP_1)
	s_cmp_lg_u32 s2, 0
	s_add_co_ci_u32 s29, s29, s35
	v_readfirstlane_b32 s28, v4
	s_wait_alu 0xfffe
	s_delay_alu instid0(VALU_DEP_1)
	s_mul_u64 s[30:31], s[30:31], s[28:29]
	s_wait_alu 0xfffe
	s_mul_hi_u32 s35, s28, s31
	s_mul_i32 s34, s28, s31
	s_mul_hi_u32 s2, s28, s30
	s_mul_i32 s33, s29, s30
	s_wait_alu 0xfffe
	s_add_nc_u64 s[34:35], s[2:3], s[34:35]
	s_mul_hi_u32 s27, s29, s30
	s_mul_hi_u32 s28, s29, s31
	s_wait_alu 0xfffe
	s_add_co_u32 s2, s34, s33
	s_add_co_ci_u32 s2, s35, s27
	s_mul_i32 s30, s29, s31
	s_add_co_ci_u32 s31, s28, 0
	s_wait_alu 0xfffe
	s_add_nc_u64 s[30:31], s[2:3], s[30:31]
	s_wait_alu 0xfffe
	v_add_co_u32 v6, s2, v4, s30
	s_delay_alu instid0(VALU_DEP_1) | instskip(SKIP_1) | instid1(VALU_DEP_1)
	s_cmp_lg_u32 s2, 0
	s_add_co_ci_u32 s2, s29, s31
	v_mul_hi_u32 v15, v9, v6
	s_wait_alu 0xfffe
	v_mad_co_u64_u32 v[4:5], null, v9, s2, 0
	v_mad_co_u64_u32 v[11:12], null, v10, v6, 0
	;; [unrolled: 1-line block ×3, first 2 shown]
	s_delay_alu instid0(VALU_DEP_3) | instskip(SKIP_1) | instid1(VALU_DEP_4)
	v_add_co_u32 v4, vcc_lo, v15, v4
	s_wait_alu 0xfffd
	v_add_co_ci_u32_e32 v5, vcc_lo, 0, v5, vcc_lo
	s_delay_alu instid0(VALU_DEP_2) | instskip(SKIP_1) | instid1(VALU_DEP_2)
	v_add_co_u32 v4, vcc_lo, v4, v11
	s_wait_alu 0xfffd
	v_add_co_ci_u32_e32 v4, vcc_lo, v5, v12, vcc_lo
	s_wait_alu 0xfffd
	v_add_co_ci_u32_e32 v5, vcc_lo, 0, v14, vcc_lo
	s_delay_alu instid0(VALU_DEP_2) | instskip(SKIP_1) | instid1(VALU_DEP_2)
	v_add_co_u32 v11, vcc_lo, v4, v13
	s_wait_alu 0xfffd
	v_add_co_ci_u32_e32 v6, vcc_lo, 0, v5, vcc_lo
	s_delay_alu instid0(VALU_DEP_2) | instskip(SKIP_1) | instid1(VALU_DEP_3)
	v_mul_lo_u32 v12, s25, v11
	v_mad_co_u64_u32 v[4:5], null, s24, v11, 0
	v_mul_lo_u32 v13, s24, v6
	s_delay_alu instid0(VALU_DEP_2) | instskip(NEXT) | instid1(VALU_DEP_2)
	v_sub_co_u32 v4, vcc_lo, v9, v4
	v_add3_u32 v5, v5, v13, v12
	s_delay_alu instid0(VALU_DEP_1) | instskip(SKIP_1) | instid1(VALU_DEP_1)
	v_sub_nc_u32_e32 v12, v10, v5
	s_wait_alu 0xfffd
	v_subrev_co_ci_u32_e64 v12, s2, s25, v12, vcc_lo
	v_add_co_u32 v13, s2, v11, 2
	s_wait_alu 0xf1ff
	v_add_co_ci_u32_e64 v14, s2, 0, v6, s2
	v_sub_co_u32 v15, s2, v4, s24
	v_sub_co_ci_u32_e32 v5, vcc_lo, v10, v5, vcc_lo
	s_wait_alu 0xf1ff
	v_subrev_co_ci_u32_e64 v12, s2, 0, v12, s2
	s_delay_alu instid0(VALU_DEP_3) | instskip(NEXT) | instid1(VALU_DEP_3)
	v_cmp_le_u32_e32 vcc_lo, s24, v15
	v_cmp_eq_u32_e64 s2, s25, v5
	s_wait_alu 0xfffd
	v_cndmask_b32_e64 v15, 0, -1, vcc_lo
	v_cmp_le_u32_e32 vcc_lo, s25, v12
	s_wait_alu 0xfffd
	v_cndmask_b32_e64 v16, 0, -1, vcc_lo
	v_cmp_le_u32_e32 vcc_lo, s24, v4
	;; [unrolled: 3-line block ×3, first 2 shown]
	s_wait_alu 0xfffd
	v_cndmask_b32_e64 v17, 0, -1, vcc_lo
	v_cmp_eq_u32_e32 vcc_lo, s25, v12
	s_wait_alu 0xf1ff
	s_delay_alu instid0(VALU_DEP_2)
	v_cndmask_b32_e64 v4, v17, v4, s2
	s_wait_alu 0xfffd
	v_cndmask_b32_e32 v12, v16, v15, vcc_lo
	v_add_co_u32 v15, vcc_lo, v11, 1
	s_wait_alu 0xfffd
	v_add_co_ci_u32_e32 v16, vcc_lo, 0, v6, vcc_lo
	s_delay_alu instid0(VALU_DEP_3) | instskip(SKIP_1) | instid1(VALU_DEP_2)
	v_cmp_ne_u32_e32 vcc_lo, 0, v12
	s_wait_alu 0xfffd
	v_dual_cndmask_b32 v5, v16, v14 :: v_dual_cndmask_b32 v12, v15, v13
	v_cmp_ne_u32_e32 vcc_lo, 0, v4
	s_wait_alu 0xfffd
	s_delay_alu instid0(VALU_DEP_2)
	v_dual_cndmask_b32 v6, v6, v5 :: v_dual_cndmask_b32 v5, v11, v12
.LBB0_4:                                ;   in Loop: Header=BB0_2 Depth=1
	s_wait_alu 0xfffe
	s_and_not1_saveexec_b32 s2, s26
	s_cbranch_execz .LBB0_6
; %bb.5:                                ;   in Loop: Header=BB0_2 Depth=1
	v_cvt_f32_u32_e32 v4, s24
	s_sub_co_i32 s26, 0, s24
	s_delay_alu instid0(VALU_DEP_1) | instskip(NEXT) | instid1(TRANS32_DEP_1)
	v_rcp_iflag_f32_e32 v4, v4
	v_mul_f32_e32 v4, 0x4f7ffffe, v4
	s_delay_alu instid0(VALU_DEP_1) | instskip(SKIP_1) | instid1(VALU_DEP_1)
	v_cvt_u32_f32_e32 v4, v4
	s_wait_alu 0xfffe
	v_mul_lo_u32 v5, s26, v4
	s_delay_alu instid0(VALU_DEP_1) | instskip(NEXT) | instid1(VALU_DEP_1)
	v_mul_hi_u32 v5, v4, v5
	v_add_nc_u32_e32 v4, v4, v5
	s_delay_alu instid0(VALU_DEP_1) | instskip(NEXT) | instid1(VALU_DEP_1)
	v_mul_hi_u32 v4, v9, v4
	v_mul_lo_u32 v5, v4, s24
	v_add_nc_u32_e32 v6, 1, v4
	s_delay_alu instid0(VALU_DEP_2) | instskip(NEXT) | instid1(VALU_DEP_1)
	v_sub_nc_u32_e32 v5, v9, v5
	v_subrev_nc_u32_e32 v11, s24, v5
	v_cmp_le_u32_e32 vcc_lo, s24, v5
	s_wait_alu 0xfffd
	s_delay_alu instid0(VALU_DEP_2) | instskip(NEXT) | instid1(VALU_DEP_1)
	v_dual_cndmask_b32 v5, v5, v11 :: v_dual_cndmask_b32 v4, v4, v6
	v_cmp_le_u32_e32 vcc_lo, s24, v5
	s_delay_alu instid0(VALU_DEP_2) | instskip(SKIP_1) | instid1(VALU_DEP_1)
	v_add_nc_u32_e32 v6, 1, v4
	s_wait_alu 0xfffd
	v_dual_cndmask_b32 v5, v4, v6 :: v_dual_mov_b32 v6, v3
.LBB0_6:                                ;   in Loop: Header=BB0_2 Depth=1
	s_wait_alu 0xfffe
	s_or_b32 exec_lo, exec_lo, s2
	s_delay_alu instid0(VALU_DEP_1) | instskip(NEXT) | instid1(VALU_DEP_2)
	v_mul_lo_u32 v4, v6, s24
	v_mul_lo_u32 v13, v5, s25
	s_load_b64 s[26:27], s[18:19], 0x0
	v_mad_co_u64_u32 v[11:12], null, v5, s24, 0
	s_load_b64 s[24:25], s[16:17], 0x0
	s_add_nc_u64 s[20:21], s[20:21], 1
	s_add_nc_u64 s[16:17], s[16:17], 8
	s_wait_alu 0xfffe
	v_cmp_ge_u64_e64 s2, s[20:21], s[10:11]
	s_add_nc_u64 s[18:19], s[18:19], 8
	s_add_nc_u64 s[22:23], s[22:23], 8
	v_add3_u32 v4, v12, v13, v4
	v_sub_co_u32 v9, vcc_lo, v9, v11
	s_wait_alu 0xfffd
	s_delay_alu instid0(VALU_DEP_2) | instskip(SKIP_2) | instid1(VALU_DEP_1)
	v_sub_co_ci_u32_e32 v4, vcc_lo, v10, v4, vcc_lo
	s_and_b32 vcc_lo, exec_lo, s2
	s_wait_kmcnt 0x0
	v_mul_lo_u32 v10, s26, v4
	v_mul_lo_u32 v11, s27, v9
	v_mad_co_u64_u32 v[7:8], null, s26, v9, v[7:8]
	v_mul_lo_u32 v4, s24, v4
	v_mul_lo_u32 v12, s25, v9
	v_mad_co_u64_u32 v[1:2], null, s24, v9, v[1:2]
	s_delay_alu instid0(VALU_DEP_4) | instskip(NEXT) | instid1(VALU_DEP_2)
	v_add3_u32 v8, v11, v8, v10
	v_add3_u32 v2, v12, v2, v4
	s_wait_alu 0xfffe
	s_cbranch_vccnz .LBB0_9
; %bb.7:                                ;   in Loop: Header=BB0_2 Depth=1
	v_dual_mov_b32 v10, v6 :: v_dual_mov_b32 v9, v5
	s_branch .LBB0_2
.LBB0_8:
	v_dual_mov_b32 v1, v7 :: v_dual_mov_b32 v2, v8
	v_dual_mov_b32 v5, v9 :: v_dual_mov_b32 v6, v10
.LBB0_9:
	s_load_b64 s[0:1], s[0:1], 0x28
	v_mul_hi_u32_u24_e32 v4, 0xca4588, v0
                                        ; implicit-def: $vgpr3
	s_wait_kmcnt 0x0
	s_delay_alu instid0(VALU_DEP_2) | instskip(SKIP_1) | instid1(VALU_DEP_1)
	v_cmp_gt_u64_e32 vcc_lo, s[0:1], v[5:6]
	v_cmp_le_u64_e64 s0, s[0:1], v[5:6]
	s_and_saveexec_b32 s1, s0
	s_wait_alu 0xfffe
	s_xor_b32 s0, exec_lo, s1
; %bb.10:
	v_mul_u32_u24_e32 v3, 0x144, v4
                                        ; implicit-def: $vgpr4
                                        ; implicit-def: $vgpr7_vgpr8
	s_delay_alu instid0(VALU_DEP_1)
	v_sub_nc_u32_e32 v3, v0, v3
                                        ; implicit-def: $vgpr0
; %bb.11:
	s_wait_alu 0xfffe
	s_or_saveexec_b32 s1, s0
	s_lshl_b64 s[2:3], s[10:11], 3
	s_wait_alu 0xfffe
	s_xor_b32 exec_lo, exec_lo, s1
	s_cbranch_execz .LBB0_13
; %bb.12:
	s_add_nc_u64 s[10:11], s[12:13], s[2:3]
	v_lshlrev_b64_e32 v[7:8], 2, v[7:8]
	s_load_b64 s[10:11], s[10:11], 0x0
	s_wait_kmcnt 0x0
	v_mul_lo_u32 v3, s11, v5
	v_mul_lo_u32 v11, s10, v6
	v_mad_co_u64_u32 v[9:10], null, s10, v5, 0
	s_delay_alu instid0(VALU_DEP_1) | instskip(SKIP_1) | instid1(VALU_DEP_2)
	v_add3_u32 v10, v10, v11, v3
	v_mul_u32_u24_e32 v3, 0x144, v4
	v_lshlrev_b64_e32 v[9:10], 2, v[9:10]
	s_delay_alu instid0(VALU_DEP_2) | instskip(NEXT) | instid1(VALU_DEP_2)
	v_sub_nc_u32_e32 v3, v0, v3
	v_add_co_u32 v0, s0, s4, v9
	s_wait_alu 0xf1ff
	s_delay_alu instid0(VALU_DEP_3) | instskip(NEXT) | instid1(VALU_DEP_3)
	v_add_co_ci_u32_e64 v4, s0, s5, v10, s0
	v_lshlrev_b32_e32 v9, 2, v3
	s_delay_alu instid0(VALU_DEP_3) | instskip(SKIP_1) | instid1(VALU_DEP_3)
	v_add_co_u32 v0, s0, v0, v7
	s_wait_alu 0xf1ff
	v_add_co_ci_u32_e64 v4, s0, v4, v8, s0
	s_delay_alu instid0(VALU_DEP_2) | instskip(SKIP_1) | instid1(VALU_DEP_2)
	v_add_co_u32 v7, s0, v0, v9
	s_wait_alu 0xf1ff
	v_add_co_ci_u32_e64 v8, s0, 0, v4, s0
	s_clause 0xb
	global_load_b32 v0, v[7:8], off
	global_load_b32 v4, v[7:8], off offset:1296
	global_load_b32 v10, v[7:8], off offset:2592
	;; [unrolled: 1-line block ×11, first 2 shown]
	v_add_nc_u32_e32 v8, 0, v9
	s_wait_loadcnt 0xb
	ds_store_b32 v8, v0
	s_wait_loadcnt 0xa
	ds_store_b32 v8, v4 offset:1296
	s_wait_loadcnt 0x9
	ds_store_b32 v8, v10 offset:2592
	;; [unrolled: 2-line block ×11, first 2 shown]
.LBB0_13:
	s_or_b32 exec_lo, exec_lo, s1
	v_lshl_add_u32 v0, v3, 2, 0
	global_wb scope:SCOPE_SE
	s_wait_dscnt 0x0
	s_barrier_signal -1
	s_barrier_wait -1
	global_inv scope:SCOPE_SE
	v_add_nc_u32_e32 v4, 0x780, v0
	v_add_nc_u32_e32 v9, 0xf00, v0
	;; [unrolled: 1-line block ×3, first 2 shown]
	ds_load_2addr_b32 v[7:8], v0 offset1:243
	v_add_nc_u32_e32 v15, 0x25e0, v0
	ds_load_2addr_b32 v[11:12], v4 offset0:6 offset1:249
	ds_load_2addr_b32 v[9:10], v9 offset0:12 offset1:255
	v_add_nc_u32_e32 v4, 0x1e40, v0
	v_add_nc_u32_e32 v17, 0x2d80, v0
	;; [unrolled: 1-line block ×3, first 2 shown]
	ds_load_2addr_b32 v[13:14], v13 offset0:2 offset1:245
	ds_load_2addr_b32 v[19:20], v4 offset0:8 offset1:251
	ds_load_2addr_b32 v[15:16], v15 offset0:6 offset1:249
	ds_load_2addr_b32 v[21:22], v17 offset0:4 offset1:247
	ds_load_2addr_b32 v[17:18], v18 offset0:10 offset1:253
	s_add_nc_u64 s[2:3], s[14:15], s[2:3]
	s_mov_b32 s1, exec_lo
	global_wb scope:SCOPE_SE
	s_wait_dscnt 0x0
	s_barrier_signal -1
	s_barrier_wait -1
	global_inv scope:SCOPE_SE
	v_cmpx_gt_u32_e32 0xf3, v3
	s_cbranch_execz .LBB0_15
; %bb.14:
	v_pk_add_f16 v4, v9, v21 neg_lo:[0,1] neg_hi:[0,1]
	v_pk_add_f16 v17, v13, v17 neg_lo:[0,1] neg_hi:[0,1]
	;; [unrolled: 1-line block ×6, first 2 shown]
	v_lshrrev_b32_e32 v22, 16, v4
	v_pk_add_f16 v20, v8, v20 neg_lo:[0,1] neg_hi:[0,1]
	v_lshrrev_b32_e32 v23, 16, v17
	v_lshrrev_b32_e32 v24, 16, v21
	v_pk_add_f16 v16, v12, v16 neg_lo:[0,1] neg_hi:[0,1]
	v_lshrrev_b32_e32 v25, 16, v18
	v_sub_f16_e32 v22, v19, v22
	v_sub_f16_e32 v23, v15, v23
	v_lshrrev_b32_e32 v26, 16, v15
	v_sub_f16_e32 v24, v20, v24
	v_lshrrev_b32_e32 v27, 16, v16
	v_lshrrev_b32_e32 v28, 16, v20
	v_sub_f16_e32 v25, v16, v25
	v_fmamk_f16 v29, v23, 0x39a8, v22
	v_add_f16_e32 v30, v26, v17
	v_add_f16_e32 v31, v27, v18
	;; [unrolled: 1-line block ×3, first 2 shown]
	v_fmamk_f16 v33, v25, 0x39a8, v24
	v_lshrrev_b32_e32 v37, 16, v19
	v_fmac_f16_e32 v29, 0xb9a8, v30
	v_fma_f16 v41, v15, 2.0, -v23
	v_fmamk_f16 v34, v31, 0x39a8, v32
	v_fmac_f16_e32 v33, 0xb9a8, v31
	v_add_f16_e32 v40, v37, v4
	v_fma_f16 v35, v22, 2.0, -v29
	v_fma_f16 v22, v19, 2.0, -v22
	v_fmac_f16_e32 v34, 0x39a8, v25
	v_fma_f16 v36, v24, 2.0, -v33
	v_fma_f16 v24, v20, 2.0, -v24
	;; [unrolled: 1-line block ×8, first 2 shown]
	v_fmamk_f16 v32, v41, 0xb9a8, v22
	v_fmamk_f16 v37, v25, 0xb9a8, v24
	v_fmamk_f16 v30, v30, 0x39a8, v40
	v_fmamk_f16 v42, v27, 0xb9a8, v28
	v_fmamk_f16 v43, v26, 0xb9a8, v31
	v_fmac_f16_e32 v32, 0xb9a8, v26
	v_fmac_f16_e32 v37, 0xb9a8, v27
	v_pk_fma_f16 v11, v11, 2.0, v15 op_sel_hi:[1,0,1] neg_lo:[0,0,1] neg_hi:[0,0,1]
	v_pk_fma_f16 v13, v13, 2.0, v17 op_sel_hi:[1,0,1] neg_lo:[0,0,1] neg_hi:[0,0,1]
	;; [unrolled: 1-line block ×4, first 2 shown]
	v_fmac_f16_e32 v42, 0x39a8, v25
	v_fmac_f16_e32 v43, 0x39a8, v41
	v_fma_f16 v22, v22, 2.0, -v32
	v_fma_f16 v24, v24, 2.0, -v37
	v_pk_fma_f16 v7, v7, 2.0, v19 op_sel_hi:[1,0,1] neg_lo:[0,0,1] neg_hi:[0,0,1]
	v_pk_fma_f16 v4, v9, 2.0, v4 op_sel_hi:[1,0,1] neg_lo:[0,0,1] neg_hi:[0,0,1]
	;; [unrolled: 1-line block ×4, first 2 shown]
	v_fmac_f16_e32 v30, 0x39a8, v23
	v_pk_add_f16 v9, v11, v13 neg_lo:[0,1] neg_hi:[0,1]
	v_pk_add_f16 v13, v12, v14 neg_lo:[0,1] neg_hi:[0,1]
	v_fmamk_f16 v27, v37, 0x361f, v32
	v_fma_f16 v28, v28, 2.0, -v42
	v_fma_f16 v14, v31, 2.0, -v43
	v_pk_add_f16 v4, v7, v4 neg_lo:[0,1] neg_hi:[0,1]
	v_pk_add_f16 v10, v8, v10 neg_lo:[0,1] neg_hi:[0,1]
	v_fmamk_f16 v18, v24, 0xbb64, v22
	v_fmamk_f16 v39, v36, 0xb61f, v35
	v_fma_f16 v23, v40, 2.0, -v30
	v_lshrrev_b32_e32 v15, 16, v9
	v_lshrrev_b32_e32 v16, 16, v13
	v_fmamk_f16 v26, v34, 0x3b64, v30
	v_fmac_f16_e32 v27, 0xbb64, v42
	v_fmamk_f16 v19, v28, 0xbb64, v14
	v_lshrrev_b32_e32 v20, 16, v10
	v_fmac_f16_e32 v18, 0xb61f, v28
	v_lshrrev_b32_e32 v28, 16, v4
	v_fmac_f16_e32 v39, 0xbb64, v38
	v_fmamk_f16 v38, v38, 0xb61f, v23
	v_sub_f16_e32 v15, v4, v15
	v_sub_f16_e32 v16, v10, v16
	v_fmamk_f16 v25, v33, 0x3b64, v29
	v_fmac_f16_e32 v26, 0x361f, v33
	v_fma_f16 v33, v32, 2.0, -v27
	v_fmac_f16_e32 v19, 0x361f, v24
	v_add_f16_e32 v24, v20, v13
	v_add_f16_e32 v32, v28, v9
	v_fmac_f16_e32 v38, 0x3b64, v36
	v_fma_f16 v17, v35, 2.0, -v39
	v_fma_f16 v35, v4, 2.0, -v15
	;; [unrolled: 1-line block ×3, first 2 shown]
	v_pk_fma_f16 v4, v7, 2.0, v4 op_sel_hi:[1,0,1] neg_lo:[0,0,1] neg_hi:[0,0,1]
	v_pk_fma_f16 v7, v8, 2.0, v10 op_sel_hi:[1,0,1] neg_lo:[0,0,1] neg_hi:[0,0,1]
	;; [unrolled: 1-line block ×4, first 2 shown]
	v_fma_f16 v20, v20, 2.0, -v24
	v_fma_f16 v10, v28, 2.0, -v32
	v_fmamk_f16 v11, v24, 0x39a8, v32
	v_fmamk_f16 v12, v36, 0xb9a8, v35
	v_pk_add_f16 v8, v7, v8 neg_lo:[0,1] neg_hi:[0,1]
	v_pk_add_f16 v9, v4, v9 neg_lo:[0,1] neg_hi:[0,1]
	v_fmamk_f16 v13, v20, 0xb9a8, v10
	v_fmamk_f16 v40, v42, 0x361f, v43
	v_fma_f16 v21, v23, 2.0, -v38
	v_fmamk_f16 v23, v16, 0x39a8, v15
	v_fmac_f16_e32 v11, 0x39a8, v16
	v_fmac_f16_e32 v12, 0xb9a8, v20
	v_lshrrev_b32_e32 v16, 16, v8
	v_lshrrev_b32_e32 v20, 16, v9
	v_pk_fma_f16 v4, v4, 2.0, v9 op_sel_hi:[1,0,1] neg_lo:[0,0,1] neg_hi:[0,0,1]
	v_pk_fma_f16 v7, v7, 2.0, v8 op_sel_hi:[1,0,1] neg_lo:[0,0,1] neg_hi:[0,0,1]
	v_fmac_f16_e32 v13, 0x39a8, v36
	v_fmac_f16_e32 v40, 0x3b64, v37
	v_sub_f16_e32 v16, v9, v16
	v_add_f16_e32 v8, v20, v8
	v_fmac_f16_e32 v25, 0xb61f, v34
	v_fmac_f16_e32 v23, 0xb9a8, v24
	v_fma_f16 v22, v22, 2.0, -v18
	v_fma_f16 v14, v14, 2.0, -v19
	v_pk_add_f16 v7, v4, v7 neg_lo:[0,1] neg_hi:[0,1]
	v_fma_f16 v24, v35, 2.0, -v12
	v_fma_f16 v10, v10, 2.0, -v13
	;; [unrolled: 1-line block ×9, first 2 shown]
	v_mad_u32_u24 v31, v3, 60, v0
	v_pk_fma_f16 v4, v4, 2.0, v7 op_sel_hi:[1,0,1] neg_lo:[0,0,1] neg_hi:[0,0,1]
	v_pack_b32_f16 v14, v22, v14
	v_pack_b32_f16 v17, v17, v21
	;; [unrolled: 1-line block ×14, first 2 shown]
	ds_store_2addr_b32 v31, v4, v14 offset1:1
	ds_store_2addr_b32 v31, v10, v17 offset0:2 offset1:3
	ds_store_2addr_b32 v31, v9, v20 offset0:4 offset1:5
	;; [unrolled: 1-line block ×7, first 2 shown]
.LBB0_15:
	s_wait_alu 0xfffe
	s_or_b32 exec_lo, exec_lo, s1
	v_and_b32_e32 v17, 15, v3
	v_add_nc_u32_e32 v12, 0x144, v3
	v_add_nc_u32_e32 v11, 0x288, v3
	;; [unrolled: 1-line block ×3, first 2 shown]
	s_load_b64 s[2:3], s[2:3], 0x0
	v_lshlrev_b32_e32 v7, 3, v17
	v_and_b32_e32 v18, 15, v12
	v_and_b32_e32 v19, 15, v11
	;; [unrolled: 1-line block ×3, first 2 shown]
	global_wb scope:SCOPE_SE
	s_wait_dscnt 0x0
	s_wait_kmcnt 0x0
	s_barrier_signal -1
	s_barrier_wait -1
	global_inv scope:SCOPE_SE
	global_load_b64 v[7:8], v7, s[8:9]
	v_lshlrev_b32_e32 v9, 3, v18
	v_lshlrev_b32_e32 v13, 3, v19
	;; [unrolled: 1-line block ×3, first 2 shown]
	s_clause 0x2
	global_load_b64 v[9:10], v9, s[8:9]
	global_load_b64 v[13:14], v13, s[8:9]
	;; [unrolled: 1-line block ×3, first 2 shown]
	ds_load_b32 v21, v0 offset:6480
	ds_load_b32 v22, v0
	ds_load_b32 v23, v0 offset:1296
	ds_load_b32 v24, v0 offset:2592
	ds_load_u16 v25, v0 offset:7778
	ds_load_b32 v26, v0 offset:7776
	ds_load_b32 v27, v0 offset:5184
	;; [unrolled: 1-line block ×8, first 2 shown]
	v_lshrrev_b32_e32 v29, 4, v3
	v_lshrrev_b32_e32 v36, 4, v12
	;; [unrolled: 1-line block ×4, first 2 shown]
	v_and_b32_e32 v41, 0xffff, v11
	v_mul_u32_u24_e32 v29, 48, v29
	v_and_b32_e32 v35, 0xffff, v3
	v_and_b32_e32 v40, 0xffff, v12
	;; [unrolled: 1-line block ×3, first 2 shown]
	v_mul_u32_u24_e32 v43, 0xaaab, v41
	v_or_b32_e32 v17, v29, v17
	v_mul_u32_u24_e32 v29, 48, v36
	v_mul_u32_u24_e32 v36, 48, v37
	v_mul_u32_u24_e32 v37, 48, v38
	s_wait_dscnt 0xc
	v_lshrrev_b32_e32 v52, 16, v21
	s_wait_dscnt 0x4
	v_lshrrev_b32_e32 v53, 16, v30
	;; [unrolled: 2-line block ×3, first 2 shown]
	v_lshrrev_b32_e32 v50, 16, v27
	s_wait_dscnt 0x1
	v_lshrrev_b32_e32 v51, 16, v33
	s_wait_dscnt 0x0
	v_lshrrev_b32_e32 v48, 16, v34
	v_lshrrev_b32_e32 v49, 16, v32
	v_mul_u32_u24_e32 v39, 0xaaab, v35
	v_or_b32_e32 v20, v37, v20
	v_lshrrev_b32_e32 v37, 21, v43
	v_lshrrev_b32_e32 v43, 16, v22
	v_mul_u32_u24_e32 v44, 0xaaab, v42
	v_lshrrev_b32_e32 v38, 21, v39
	v_mul_u32_u24_e32 v39, 0xaaab, v40
	v_or_b32_e32 v19, v36, v19
	v_or_b32_e32 v18, v29, v18
	v_lshrrev_b32_e32 v47, 16, v28
	v_mul_lo_u16 v29, v38, 48
	v_lshrrev_b32_e32 v36, 21, v39
	v_lshrrev_b32_e32 v39, 21, v44
	;; [unrolled: 1-line block ×4, first 2 shown]
	v_sub_nc_u16 v29, v3, v29
	v_mul_lo_u16 v54, v36, 48
	v_mul_lo_u16 v55, v37, 48
	;; [unrolled: 1-line block ×3, first 2 shown]
	v_lshl_add_u32 v17, v17, 2, 0
	v_and_b32_e32 v29, 0xffff, v29
	v_sub_nc_u16 v54, v12, v54
	v_sub_nc_u16 v55, v11, v55
	;; [unrolled: 1-line block ×3, first 2 shown]
	global_wb scope:SCOPE_SE
	s_wait_loadcnt 0x0
	s_barrier_signal -1
	v_and_b32_e32 v54, 0xffff, v54
	s_barrier_wait -1
	global_inv scope:SCOPE_SE
	v_lshl_add_u32 v18, v18, 2, 0
	v_lshlrev_b32_e32 v57, 3, v29
	v_and_b32_e32 v55, 0xffff, v55
	v_and_b32_e32 v56, 0xffff, v56
	v_lshl_add_u32 v19, v19, 2, 0
	v_lshl_add_u32 v20, v20, 2, 0
	v_lshlrev_b32_e32 v60, 3, v54
	v_lshlrev_b32_e32 v61, 3, v55
	v_cmp_gt_u32_e64 s0, 0x6c, v3
	s_mov_b32 s1, exec_lo
	v_lshrrev_b32_e32 v58, 16, v7
	v_lshrrev_b32_e32 v59, 16, v8
	;; [unrolled: 1-line block ×3, first 2 shown]
	s_delay_alu instid0(VALU_DEP_3) | instskip(SKIP_1) | instid1(VALU_DEP_4)
	v_mul_f16_e32 v62, v58, v50
	v_mul_f16_e32 v58, v58, v27
	;; [unrolled: 1-line block ×4, first 2 shown]
	v_lshrrev_b32_e32 v65, 16, v10
	v_lshrrev_b32_e32 v66, 16, v13
	v_lshrrev_b32_e32 v67, 16, v14
	v_lshrrev_b32_e32 v68, 16, v15
	v_lshrrev_b32_e32 v69, 16, v16
	v_fma_f16 v27, v7, v27, -v62
	v_fmac_f16_e32 v58, v7, v50
	v_fma_f16 v7, v8, v33, -v63
	v_fmac_f16_e32 v59, v8, v51
	v_mul_f16_e32 v8, v64, v52
	v_mul_f16_e32 v33, v64, v21
	;; [unrolled: 1-line block ×12, first 2 shown]
	v_fma_f16 v8, v9, v21, -v8
	v_fmac_f16_e32 v33, v9, v52
	v_fma_f16 v9, v10, v30, -v50
	v_fmac_f16_e32 v51, v10, v53
	;; [unrolled: 2-line block ×6, first 2 shown]
	v_add_f16_e32 v16, v22, v27
	v_add_f16_e32 v21, v27, v7
	;; [unrolled: 1-line block ×4, first 2 shown]
	v_sub_f16_e32 v25, v58, v59
	v_sub_f16_e32 v27, v27, v7
	v_add_f16_e32 v7, v16, v7
	v_fmac_f16_e32 v22, -0.5, v21
	v_add_f16_e32 v16, v26, v59
	v_fmac_f16_e32 v43, -0.5, v30
	v_add_f16_e32 v26, v8, v9
	v_add_f16_e32 v32, v33, v51
	;; [unrolled: 1-line block ×7, first 2 shown]
	v_sub_f16_e32 v30, v33, v51
	v_add_f16_e32 v31, v44, v33
	v_sub_f16_e32 v8, v8, v9
	v_add_f16_e32 v50, v28, v14
	v_add_f16_e32 v58, v47, v67
	v_sub_f16_e32 v14, v14, v15
	v_fmamk_f16 v62, v25, 0x3aee, v22
	v_fmac_f16_e32 v22, 0xbaee, v25
	v_fmamk_f16 v25, v27, 0xbaee, v43
	v_fmac_f16_e32 v23, -0.5, v26
	v_fmac_f16_e32 v44, -0.5, v32
	;; [unrolled: 1-line block ×3, first 2 shown]
	v_fmac_f16_e32 v43, 0x3aee, v27
	v_add_f16_e32 v33, v24, v10
	v_sub_f16_e32 v46, v63, v65
	v_add_f16_e32 v48, v45, v63
	v_sub_f16_e32 v10, v10, v13
	v_fmac_f16_e32 v24, -0.5, v34
	v_fmac_f16_e32 v45, -0.5, v49
	v_sub_f16_e32 v53, v67, v69
	v_fmac_f16_e32 v28, -0.5, v52
	v_add_f16_e32 v9, v21, v9
	v_add_f16_e32 v21, v31, v51
	v_pack_b32_f16 v7, v7, v16
	v_fmamk_f16 v16, v30, 0x3aee, v23
	v_fmac_f16_e32 v23, 0xbaee, v30
	v_fmamk_f16 v30, v8, 0xbaee, v44
	v_fmamk_f16 v32, v14, 0xbaee, v47
	v_fmac_f16_e32 v47, 0x3aee, v14
	v_pack_b32_f16 v14, v62, v25
	v_fmac_f16_e32 v44, 0x3aee, v8
	v_pack_b32_f16 v22, v22, v43
	v_add_f16_e32 v13, v33, v13
	v_add_f16_e32 v26, v48, v65
	v_fmamk_f16 v8, v46, 0x3aee, v24
	v_fmamk_f16 v31, v10, 0xbaee, v45
	v_fmac_f16_e32 v24, 0xbaee, v46
	v_fmac_f16_e32 v45, 0x3aee, v10
	v_add_f16_e32 v15, v50, v15
	v_add_f16_e32 v27, v58, v69
	v_fmamk_f16 v10, v53, 0x3aee, v28
	v_fmac_f16_e32 v28, 0xbaee, v53
	v_pack_b32_f16 v9, v9, v21
	ds_store_2addr_b32 v17, v7, v14 offset1:16
	ds_store_b32 v17, v22 offset:128
	v_pack_b32_f16 v7, v16, v30
	v_pack_b32_f16 v14, v23, v44
	;; [unrolled: 1-line block ×8, first 2 shown]
	ds_store_2addr_b32 v18, v9, v7 offset1:16
	ds_store_b32 v18, v14 offset:128
	ds_store_2addr_b32 v19, v13, v8 offset1:16
	ds_store_b32 v19, v16 offset:128
	;; [unrolled: 2-line block ×3, first 2 shown]
	global_wb scope:SCOPE_SE
	s_wait_dscnt 0x0
	s_barrier_signal -1
	s_barrier_wait -1
	global_inv scope:SCOPE_SE
	global_load_b64 v[7:8], v57, s[8:9] offset:128
	v_lshlrev_b32_e32 v15, 3, v56
	s_clause 0x2
	global_load_b64 v[9:10], v60, s[8:9] offset:128
	global_load_b64 v[13:14], v61, s[8:9] offset:128
	;; [unrolled: 1-line block ×3, first 2 shown]
	v_mul_u32_u24_e32 v17, 0xe38f, v35
	v_mul_u32_u24_e32 v18, 0xe38f, v41
	;; [unrolled: 1-line block ×5, first 2 shown]
	v_lshrrev_b32_e32 v21, 23, v17
	v_mul_u32_u24_e32 v17, 0xe38f, v40
	v_lshrrev_b32_e32 v24, 23, v18
	v_lshrrev_b32_e32 v25, 23, v19
	v_mul_u32_u24_e32 v18, 0x240, v37
	v_mul_lo_u16 v22, 0x90, v21
	v_lshrrev_b32_e32 v23, 23, v17
	v_mul_lo_u16 v26, 0x90, v24
	v_mul_u32_u24_e32 v17, 0x240, v36
	v_mul_lo_u16 v27, 0x90, v25
	v_sub_nc_u16 v19, v3, v22
	v_mul_lo_u16 v22, 0x90, v23
	v_lshlrev_b32_e32 v44, 2, v56
	v_lshlrev_b32_e32 v43, 2, v55
	v_mul_u32_u24_e32 v23, 0x6c0, v23
	v_and_b32_e32 v30, 0xffff, v19
	v_sub_nc_u16 v19, v12, v22
	v_sub_nc_u16 v22, v11, v26
	;; [unrolled: 1-line block ×3, first 2 shown]
	v_lshlrev_b32_e32 v27, 2, v29
	v_add3_u32 v18, 0, v18, v43
	v_and_b32_e32 v31, 0xffff, v19
	v_and_b32_e32 v32, 0xffff, v22
	ds_load_b32 v19, v0
	ds_load_b32 v22, v0 offset:1296
	ds_load_b32 v33, v0 offset:2592
	;; [unrolled: 1-line block ×11, first 2 shown]
	v_add3_u32 v20, 0, v20, v27
	v_lshlrev_b32_e32 v27, 2, v54
	v_lshlrev_b32_e32 v29, 3, v30
	v_and_b32_e32 v26, 0xffff, v26
	v_lshlrev_b32_e32 v45, 3, v31
	v_lshlrev_b32_e32 v46, 3, v32
	v_add3_u32 v17, 0, v17, v27
	v_add3_u32 v27, 0, v28, v44
	s_wait_dscnt 0xb
	v_lshrrev_b32_e32 v28, 16, v19
	s_wait_dscnt 0xa
	v_lshrrev_b32_e32 v43, 16, v22
	;; [unrolled: 2-line block ×12, first 2 shown]
	global_wb scope:SCOPE_SE
	s_wait_loadcnt 0x0
	s_barrier_signal -1
	s_barrier_wait -1
	global_inv scope:SCOPE_SE
	v_lshlrev_b32_e32 v30, 2, v30
	v_mul_u32_u24_e32 v24, 0x6c0, v24
	v_mul_u32_u24_e32 v25, 0x6c0, v25
	v_lshlrev_b32_e32 v31, 2, v31
	v_lshlrev_b32_e32 v32, 2, v32
	v_lshrrev_b32_e32 v56, 16, v7
	v_lshrrev_b32_e32 v57, 16, v8
	;; [unrolled: 1-line block ×8, first 2 shown]
	v_mul_f16_e32 v64, v56, v51
	v_mul_f16_e32 v56, v56, v40
	;; [unrolled: 1-line block ×16, first 2 shown]
	v_fma_f16 v40, v7, v40, -v64
	v_fmac_f16_e32 v56, v7, v51
	v_fma_f16 v7, v8, v34, -v65
	v_fmac_f16_e32 v57, v8, v52
	;; [unrolled: 2-line block ×8, first 2 shown]
	v_add_f16_e32 v34, v40, v7
	v_add_f16_e32 v37, v56, v57
	v_add_f16_e32 v16, v19, v40
	v_sub_f16_e32 v38, v40, v7
	v_add_f16_e32 v40, v8, v9
	v_add_f16_e32 v49, v58, v59
	;; [unrolled: 1-line block ×4, first 2 shown]
	v_sub_f16_e32 v35, v56, v57
	v_add_f16_e32 v36, v28, v56
	v_add_f16_e32 v39, v22, v8
	v_sub_f16_e32 v42, v58, v59
	v_add_f16_e32 v47, v43, v58
	v_sub_f16_e32 v52, v60, v61
	v_add_f16_e32 v53, v44, v60
	v_add_f16_e32 v55, v41, v14
	;; [unrolled: 1-line block ×3, first 2 shown]
	v_sub_f16_e32 v58, v62, v63
	v_add_f16_e32 v60, v48, v62
	v_add_f16_e32 v62, v62, v63
	v_fmac_f16_e32 v19, -0.5, v34
	v_fmac_f16_e32 v28, -0.5, v37
	v_sub_f16_e32 v8, v8, v9
	v_fmac_f16_e32 v22, -0.5, v40
	v_fmac_f16_e32 v43, -0.5, v49
	v_add_f16_e32 v50, v33, v10
	v_sub_f16_e32 v10, v10, v13
	v_fmac_f16_e32 v33, -0.5, v51
	v_fmac_f16_e32 v44, -0.5, v54
	v_sub_f16_e32 v14, v14, v15
	v_add_f16_e32 v7, v16, v7
	v_add_f16_e32 v16, v36, v57
	;; [unrolled: 1-line block ×4, first 2 shown]
	v_fmac_f16_e32 v41, -0.5, v56
	v_add_f16_e32 v37, v60, v63
	v_fmac_f16_e32 v48, -0.5, v62
	v_fmamk_f16 v39, v35, 0x3aee, v19
	v_fmac_f16_e32 v19, 0xbaee, v35
	v_fmamk_f16 v35, v38, 0xbaee, v28
	v_fmac_f16_e32 v28, 0x3aee, v38
	v_add_f16_e32 v34, v47, v59
	v_fmamk_f16 v38, v42, 0x3aee, v22
	v_fmamk_f16 v40, v8, 0xbaee, v43
	v_fmac_f16_e32 v22, 0xbaee, v42
	v_fmac_f16_e32 v43, 0x3aee, v8
	v_add_f16_e32 v13, v50, v13
	v_add_f16_e32 v36, v53, v61
	v_fmamk_f16 v8, v52, 0x3aee, v33
	v_fmamk_f16 v42, v10, 0xbaee, v44
	v_fmac_f16_e32 v33, 0xbaee, v52
	v_fmac_f16_e32 v44, 0x3aee, v10
	v_fmamk_f16 v10, v58, 0x3aee, v41
	v_fmac_f16_e32 v41, 0xbaee, v58
	v_fmamk_f16 v47, v14, 0xbaee, v48
	v_fmac_f16_e32 v48, 0x3aee, v14
	v_pack_b32_f16 v7, v7, v16
	v_pack_b32_f16 v14, v15, v37
	;; [unrolled: 1-line block ×12, first 2 shown]
	ds_store_2addr_b32 v20, v7, v15 offset1:48
	ds_store_b32 v20, v16 offset:384
	ds_store_2addr_b32 v17, v9, v19 offset1:48
	ds_store_b32 v17, v22 offset:384
	;; [unrolled: 2-line block ×4, first 2 shown]
	v_mov_b32_e32 v8, 0
	global_wb scope:SCOPE_SE
	s_wait_dscnt 0x0
	s_barrier_signal -1
	s_barrier_wait -1
	global_inv scope:SCOPE_SE
	global_load_b64 v[13:14], v29, s[8:9] offset:512
	v_lshlrev_b32_e32 v7, 3, v26
	s_clause 0x2
	global_load_b64 v[15:16], v45, s[8:9] offset:512
	global_load_b64 v[17:18], v46, s[8:9] offset:512
	global_load_b64 v[19:20], v7, s[8:9] offset:512
	v_mul_u32_u24_e32 v33, 0x6c0, v21
	ds_load_b32 v34, v0
	ds_load_b32 v35, v0 offset:1296
	ds_load_b32 v36, v0 offset:2592
	;; [unrolled: 1-line block ×10, first 2 shown]
	v_add_nc_u32_e32 v9, 0xffffff94, v3
	v_lshrrev_b16 v22, 4, v4
	v_lshlrev_b32_e32 v7, 1, v3
	v_add3_u32 v30, 0, v33, v30
	ds_load_b32 v33, v0 offset:14256
	v_lshrrev_b16 v10, 4, v11
	s_wait_alu 0xf1ff
	v_cndmask_b32_e64 v27, v9, v12, s0
	v_and_b32_e32 v22, 0xffff, v22
	v_lshlrev_b32_e32 v26, 2, v26
	global_wb scope:SCOPE_SE
	s_wait_loadcnt_dscnt 0x0
	v_and_b32_e32 v28, 0xffff, v10
	v_lshlrev_b64_e32 v[9:10], 2, v[7:8]
	v_lshlrev_b32_e32 v7, 1, v27
	v_mul_u32_u24_e32 v29, 0x12f7, v22
	v_lshrrev_b32_e32 v51, 16, v37
	v_lshrrev_b32_e32 v52, 16, v40
	;; [unrolled: 1-line block ×3, first 2 shown]
	v_lshlrev_b64_e32 v[21:22], 2, v[7:8]
	v_lshrrev_b32_e32 v7, 17, v29
	v_lshrrev_b32_e32 v50, 16, v43
	;; [unrolled: 1-line block ×5, first 2 shown]
	v_mul_lo_u16 v7, 0x1b0, v7
	v_lshrrev_b32_e32 v49, 16, v33
	v_mul_u32_u24_e32 v28, 0x12f7, v28
	v_lshrrev_b32_e32 v47, 16, v44
	v_add_co_u32 v9, s0, s8, v9
	v_sub_nc_u16 v7, v4, v7
	s_delay_alu instid0(VALU_DEP_4)
	v_lshrrev_b32_e32 v28, 17, v28
	s_wait_alu 0xf1ff
	v_add_co_ci_u32_e64 v10, s0, s9, v10, s0
	v_add_co_u32 v21, s0, s8, v21
	v_and_b32_e32 v45, 0xffff, v7
	v_add3_u32 v7, 0, v23, v31
	v_add3_u32 v23, 0, v24, v32
	;; [unrolled: 1-line block ×3, first 2 shown]
	v_lshrrev_b32_e32 v26, 16, v34
	v_lshrrev_b32_e32 v31, 16, v35
	;; [unrolled: 1-line block ×3, first 2 shown]
	v_mul_lo_u16 v29, 0x1b0, v28
	s_wait_alu 0xf1ff
	v_add_co_ci_u32_e64 v22, s0, s9, v22, s0
	s_barrier_signal -1
	s_barrier_wait -1
	v_sub_nc_u16 v29, v11, v29
	global_inv scope:SCOPE_SE
	v_cmp_lt_u32_e64 s0, 0x6b, v3
	v_and_b32_e32 v29, 0xffff, v29
	s_delay_alu instid0(VALU_DEP_1)
	v_lshlrev_b32_e32 v25, 3, v29
	v_lshrrev_b32_e32 v55, 16, v13
	v_lshrrev_b32_e32 v56, 16, v14
	;; [unrolled: 1-line block ×8, first 2 shown]
	v_mul_f16_e32 v63, v55, v50
	v_mul_f16_e32 v55, v55, v43
	v_mul_f16_e32 v64, v56, v51
	v_mul_f16_e32 v56, v56, v37
	v_mul_f16_e32 v65, v57, v52
	v_mul_f16_e32 v57, v57, v40
	v_mul_f16_e32 v66, v58, v53
	v_mul_f16_e32 v58, v58, v38
	v_mul_f16_e32 v67, v59, v54
	v_mul_f16_e32 v59, v59, v41
	v_mul_f16_e32 v68, v46, v60
	v_mul_f16_e32 v60, v39, v60
	v_mul_f16_e32 v69, v48, v61
	v_mul_f16_e32 v61, v42, v61
	v_mul_f16_e32 v70, v49, v62
	v_mul_f16_e32 v62, v33, v62
	v_fma_f16 v43, v13, v43, -v63
	v_fmac_f16_e32 v55, v13, v50
	v_fma_f16 v13, v14, v37, -v64
	v_fmac_f16_e32 v56, v14, v51
	;; [unrolled: 2-line block ×8, first 2 shown]
	v_add_f16_e32 v33, v43, v13
	v_add_f16_e32 v39, v55, v56
	;; [unrolled: 1-line block ×7, first 2 shown]
	v_sub_f16_e32 v37, v55, v56
	v_add_f16_e32 v38, v26, v55
	v_sub_f16_e32 v40, v43, v13
	v_add_f16_e32 v41, v35, v14
	;; [unrolled: 2-line block ×4, first 2 shown]
	v_add_f16_e32 v54, v44, v18
	v_add_f16_e32 v55, v18, v19
	v_sub_f16_e32 v57, v61, v62
	v_add_f16_e32 v59, v47, v61
	v_add_f16_e32 v61, v61, v62
	v_fmac_f16_e32 v34, -0.5, v33
	v_fmac_f16_e32 v26, -0.5, v39
	v_sub_f16_e32 v14, v14, v15
	v_fmac_f16_e32 v35, -0.5, v42
	v_fmac_f16_e32 v31, -0.5, v48
	v_add_f16_e32 v49, v36, v16
	v_sub_f16_e32 v16, v16, v17
	v_fmac_f16_e32 v36, -0.5, v50
	v_fmac_f16_e32 v32, -0.5, v53
	v_sub_f16_e32 v18, v18, v19
	v_add_f16_e32 v13, v20, v13
	v_add_f16_e32 v20, v38, v56
	;; [unrolled: 1-line block ×4, first 2 shown]
	v_fmac_f16_e32 v44, -0.5, v55
	v_add_f16_e32 v39, v59, v62
	v_fmac_f16_e32 v47, -0.5, v61
	v_fmamk_f16 v41, v37, 0x3aee, v34
	v_fmac_f16_e32 v34, 0xbaee, v37
	v_fmamk_f16 v37, v40, 0xbaee, v26
	v_fmac_f16_e32 v26, 0x3aee, v40
	v_add_f16_e32 v33, v46, v58
	v_fmamk_f16 v40, v43, 0x3aee, v35
	v_fmamk_f16 v42, v14, 0xbaee, v31
	v_fmac_f16_e32 v35, 0xbaee, v43
	v_fmac_f16_e32 v31, 0x3aee, v14
	v_add_f16_e32 v17, v49, v17
	v_add_f16_e32 v38, v52, v60
	v_fmamk_f16 v14, v51, 0x3aee, v36
	v_fmamk_f16 v43, v16, 0xbaee, v32
	v_fmac_f16_e32 v36, 0xbaee, v51
	v_fmac_f16_e32 v32, 0x3aee, v16
	v_fmamk_f16 v16, v57, 0x3aee, v44
	v_fmac_f16_e32 v44, 0xbaee, v57
	v_fmamk_f16 v46, v18, 0xbaee, v47
	v_fmac_f16_e32 v47, 0x3aee, v18
	v_pack_b32_f16 v13, v13, v20
	v_pack_b32_f16 v18, v19, v39
	;; [unrolled: 1-line block ×12, first 2 shown]
	ds_store_2addr_b32 v30, v13, v19 offset1:144
	ds_store_b32 v30, v20 offset:1152
	ds_store_2addr_b32 v7, v15, v26 offset1:144
	ds_store_b32 v7, v31 offset:1152
	;; [unrolled: 2-line block ×4, first 2 shown]
	global_wb scope:SCOPE_SE
	s_wait_dscnt 0x0
	s_barrier_signal -1
	s_barrier_wait -1
	global_inv scope:SCOPE_SE
	global_load_b64 v[13:14], v[9:10], off offset:1664
	v_lshlrev_b32_e32 v7, 3, v45
	s_clause 0x2
	global_load_b64 v[15:16], v[21:22], off offset:1664
	global_load_b64 v[17:18], v25, s[8:9] offset:1664
	global_load_b64 v[19:20], v7, s[8:9] offset:1664
	v_lshlrev_b32_e32 v7, 1, v12
	s_wait_alu 0xf1ff
	v_cndmask_b32_e64 v12, 0, 0x1440, s0
	v_lshlrev_b32_e32 v23, 2, v27
	v_mul_u32_u24_e32 v26, 0x1440, v28
	v_lshlrev_b64_e32 v[21:22], 2, v[7:8]
	v_lshlrev_b32_e32 v7, 1, v11
	s_delay_alu instid0(VALU_DEP_4) | instskip(NEXT) | instid1(VALU_DEP_2)
	v_add3_u32 v25, 0, v12, v23
	v_lshlrev_b64_e32 v[11:12], 2, v[7:8]
	v_lshlrev_b32_e32 v7, 1, v4
	ds_load_b32 v4, v0
	ds_load_b32 v27, v0 offset:1296
	ds_load_b32 v28, v0 offset:2592
	;; [unrolled: 1-line block ×11, first 2 shown]
	v_add_co_u32 v21, s0, s8, v21
	s_wait_alu 0xf1ff
	v_add_co_ci_u32_e64 v22, s0, s9, v22, s0
	v_lshlrev_b64_e32 v[23:24], 2, v[7:8]
	v_lshlrev_b32_e32 v7, 2, v29
	v_lshl_add_u32 v29, v45, 2, 0
	v_add_co_u32 v11, s0, s8, v11
	s_wait_dscnt 0xa
	v_lshrrev_b32_e32 v39, 16, v27
	v_add3_u32 v7, 0, v26, v7
	s_wait_dscnt 0x8
	v_lshrrev_b32_e32 v47, 16, v30
	s_wait_dscnt 0x7
	v_lshrrev_b32_e32 v49, 16, v31
	;; [unrolled: 2-line block ×4, first 2 shown]
	v_lshrrev_b32_e32 v26, 16, v4
	s_wait_dscnt 0x3
	v_lshrrev_b32_e32 v46, 16, v35
	s_wait_dscnt 0x2
	v_lshrrev_b32_e32 v48, 16, v36
	s_wait_dscnt 0x1
	v_lshrrev_b32_e32 v41, 16, v37
	s_wait_dscnt 0x0
	v_lshrrev_b32_e32 v44, 16, v38
	v_lshrrev_b32_e32 v40, 16, v28
	;; [unrolled: 1-line block ×3, first 2 shown]
	s_wait_alu 0xf1ff
	v_add_co_ci_u32_e64 v12, s0, s9, v12, s0
	global_wb scope:SCOPE_SE
	s_wait_loadcnt 0x0
	s_barrier_signal -1
	s_barrier_wait -1
	global_inv scope:SCOPE_SE
	v_lshrrev_b32_e32 v50, 16, v13
	v_lshrrev_b32_e32 v51, 16, v14
	;; [unrolled: 1-line block ×8, first 2 shown]
	v_mul_f16_e32 v58, v50, v45
	v_mul_f16_e32 v50, v50, v33
	;; [unrolled: 1-line block ×16, first 2 shown]
	v_fma_f16 v33, v13, v33, -v58
	v_fmac_f16_e32 v50, v13, v45
	v_fma_f16 v13, v14, v35, -v59
	v_fmac_f16_e32 v51, v14, v46
	;; [unrolled: 2-line block ×8, first 2 shown]
	v_add_f16_e32 v30, v33, v13
	v_add_f16_e32 v35, v50, v51
	;; [unrolled: 1-line block ×5, first 2 shown]
	v_sub_f16_e32 v31, v50, v51
	v_add_f16_e32 v32, v26, v50
	v_sub_f16_e32 v38, v52, v53
	v_add_f16_e32 v41, v39, v52
	v_add_f16_e32 v45, v16, v17
	v_sub_f16_e32 v46, v54, v55
	v_add_f16_e32 v47, v40, v54
	v_add_f16_e32 v48, v54, v55
	;; [unrolled: 1-line block ×3, first 2 shown]
	v_sub_f16_e32 v52, v56, v57
	v_add_f16_e32 v54, v42, v56
	v_add_f16_e32 v56, v56, v57
	v_sub_f16_e32 v33, v33, v13
	v_add_f16_e32 v36, v27, v14
	v_add_f16_e32 v49, v34, v18
	v_fmac_f16_e32 v4, -0.5, v30
	v_fmac_f16_e32 v26, -0.5, v35
	v_sub_f16_e32 v14, v14, v15
	v_fmac_f16_e32 v27, -0.5, v37
	v_fmac_f16_e32 v39, -0.5, v43
	v_add_f16_e32 v44, v28, v16
	v_sub_f16_e32 v16, v16, v17
	v_sub_f16_e32 v18, v18, v19
	v_add_f16_e32 v13, v20, v13
	v_add_f16_e32 v20, v32, v51
	v_fmac_f16_e32 v28, -0.5, v45
	v_fmac_f16_e32 v40, -0.5, v48
	;; [unrolled: 1-line block ×4, first 2 shown]
	v_add_f16_e32 v15, v36, v15
	v_add_f16_e32 v19, v49, v19
	;; [unrolled: 1-line block ×3, first 2 shown]
	v_fmamk_f16 v36, v31, 0x3aee, v4
	v_fmac_f16_e32 v4, 0xbaee, v31
	v_fmamk_f16 v31, v33, 0xbaee, v26
	v_fmac_f16_e32 v26, 0x3aee, v33
	v_add_f16_e32 v30, v41, v53
	v_fmamk_f16 v33, v38, 0x3aee, v27
	v_fmamk_f16 v37, v14, 0xbaee, v39
	v_add_f16_e32 v17, v44, v17
	v_add_f16_e32 v32, v47, v55
	v_fmac_f16_e32 v27, 0xbaee, v38
	v_fmac_f16_e32 v39, 0x3aee, v14
	v_fmamk_f16 v14, v46, 0x3aee, v28
	v_fmac_f16_e32 v28, 0xbaee, v46
	v_fmamk_f16 v38, v16, 0xbaee, v40
	;; [unrolled: 2-line block ×4, first 2 shown]
	v_fmac_f16_e32 v42, 0x3aee, v18
	v_pack_b32_f16 v13, v13, v20
	v_pack_b32_f16 v18, v19, v35
	;; [unrolled: 1-line block ×12, first 2 shown]
	ds_store_b32 v0, v13
	ds_store_b32 v0, v19 offset:1728
	ds_store_b32 v0, v4 offset:3456
	ds_store_b32 v25, v15
	ds_store_b32 v25, v20 offset:1728
	ds_store_b32 v25, v26 offset:3456
	;; [unrolled: 3-line block ×3, first 2 shown]
	ds_store_b32 v29, v18 offset:10368
	ds_store_b32 v29, v16 offset:12096
	;; [unrolled: 1-line block ×3, first 2 shown]
	v_add_co_u32 v13, s0, s8, v23
	global_wb scope:SCOPE_SE
	s_wait_dscnt 0x0
	s_barrier_signal -1
	s_barrier_wait -1
	global_inv scope:SCOPE_SE
	global_load_b64 v[9:10], v[9:10], off offset:5120
	s_wait_alu 0xf1ff
	v_add_co_ci_u32_e64 v14, s0, s9, v24, s0
	s_clause 0x2
	global_load_b64 v[15:16], v[21:22], off offset:5120
	global_load_b64 v[11:12], v[11:12], off offset:5120
	;; [unrolled: 1-line block ×3, first 2 shown]
	ds_load_b32 v4, v0
	ds_load_b32 v7, v0 offset:1296
	ds_load_b32 v17, v0 offset:2592
	;; [unrolled: 1-line block ×11, first 2 shown]
	global_wb scope:SCOPE_SE
	s_wait_loadcnt_dscnt 0x0
	s_barrier_signal -1
	s_barrier_wait -1
	global_inv scope:SCOPE_SE
	v_lshrrev_b32_e32 v27, 16, v4
	v_lshrrev_b32_e32 v28, 16, v7
	;; [unrolled: 1-line block ×20, first 2 shown]
	v_mul_f16_e32 v47, v39, v34
	v_mul_f16_e32 v39, v39, v24
	;; [unrolled: 1-line block ×16, first 2 shown]
	v_fma_f16 v24, v9, v24, -v47
	v_fmac_f16_e32 v39, v9, v34
	v_fma_f16 v9, v10, v25, -v48
	v_fmac_f16_e32 v40, v10, v35
	;; [unrolled: 2-line block ×8, first 2 shown]
	v_add_f16_e32 v18, v24, v9
	v_add_f16_e32 v21, v39, v40
	;; [unrolled: 1-line block ×8, first 2 shown]
	v_sub_f16_e32 v19, v39, v40
	v_sub_f16_e32 v23, v24, v9
	v_add_f16_e32 v24, v7, v10
	v_sub_f16_e32 v26, v41, v42
	v_add_f16_e32 v30, v28, v41
	;; [unrolled: 2-line block ×3, first 2 shown]
	v_add_f16_e32 v39, v12, v13
	v_sub_f16_e32 v41, v45, v46
	v_add_f16_e32 v43, v31, v45
	v_add_f16_e32 v45, v45, v46
	;; [unrolled: 1-line block ×4, first 2 shown]
	v_fmac_f16_e32 v4, -0.5, v18
	v_fmac_f16_e32 v27, -0.5, v21
	v_sub_f16_e32 v10, v10, v15
	v_fmac_f16_e32 v7, -0.5, v25
	v_fmac_f16_e32 v28, -0.5, v32
	v_sub_f16_e32 v16, v16, v11
	v_add_f16_e32 v9, v14, v9
	v_add_f16_e32 v14, v20, v40
	v_fmac_f16_e32 v17, -0.5, v34
	v_fmac_f16_e32 v29, -0.5, v37
	v_sub_f16_e32 v12, v12, v13
	v_add_f16_e32 v15, v24, v15
	v_add_f16_e32 v18, v30, v42
	v_fmac_f16_e32 v22, -0.5, v39
	v_fmac_f16_e32 v31, -0.5, v45
	v_add_f16_e32 v11, v33, v11
	v_add_f16_e32 v20, v36, v44
	;; [unrolled: 1-line block ×4, first 2 shown]
	v_fmamk_f16 v24, v19, 0x3aee, v4
	v_fmac_f16_e32 v4, 0xbaee, v19
	v_fmamk_f16 v19, v23, 0xbaee, v27
	v_fmac_f16_e32 v27, 0x3aee, v23
	v_fmamk_f16 v23, v26, 0x3aee, v7
	v_fmamk_f16 v25, v10, 0xbaee, v28
	v_fmac_f16_e32 v7, 0xbaee, v26
	v_fmac_f16_e32 v28, 0x3aee, v10
	v_fmamk_f16 v10, v35, 0x3aee, v17
	v_fmamk_f16 v26, v16, 0xbaee, v29
	v_pack_b32_f16 v9, v9, v14
	v_fmac_f16_e32 v29, 0x3aee, v16
	v_fmamk_f16 v16, v41, 0x3aee, v22
	v_fmamk_f16 v30, v12, 0xbaee, v31
	v_fmac_f16_e32 v31, 0x3aee, v12
	v_pack_b32_f16 v12, v15, v18
	v_fmac_f16_e32 v17, 0xbaee, v35
	v_fmac_f16_e32 v22, 0xbaee, v41
	v_pack_b32_f16 v11, v11, v20
	v_pack_b32_f16 v13, v13, v21
	;; [unrolled: 1-line block ×4, first 2 shown]
	ds_store_b32 v0, v9
	ds_store_b32 v0, v12 offset:1296
	ds_store_b32 v0, v11 offset:2592
	v_pack_b32_f16 v9, v10, v26
	v_pack_b32_f16 v11, v16, v30
	;; [unrolled: 1-line block ×6, first 2 shown]
	ds_store_b32 v0, v13 offset:3888
	ds_store_b32 v0, v14 offset:5184
	;; [unrolled: 1-line block ×9, first 2 shown]
	global_wb scope:SCOPE_SE
	s_wait_dscnt 0x0
	s_barrier_signal -1
	s_barrier_wait -1
	global_inv scope:SCOPE_SE
	ds_load_b32 v14, v0
	v_lshlrev_b32_e32 v4, 2, v3
                                        ; implicit-def: $vgpr13
                                        ; implicit-def: $vgpr12
                                        ; implicit-def: $vgpr11
                                        ; implicit-def: $vgpr9_vgpr10
	s_delay_alu instid0(VALU_DEP_1)
	v_sub_nc_u32_e32 v7, 0, v4
	v_cmpx_ne_u32_e32 0, v3
	s_wait_alu 0xfffe
	s_xor_b32 s1, exec_lo, s1
	s_cbranch_execz .LBB0_17
; %bb.16:
	v_mov_b32_e32 v4, v8
	s_delay_alu instid0(VALU_DEP_1) | instskip(NEXT) | instid1(VALU_DEP_1)
	v_lshlrev_b64_e32 v[8:9], 2, v[3:4]
	v_add_co_u32 v8, s0, s8, v8
	s_wait_alu 0xf1ff
	s_delay_alu instid0(VALU_DEP_2)
	v_add_co_ci_u32_e64 v9, s0, s9, v9, s0
	global_load_b32 v8, v[8:9], off offset:15488
	ds_load_b32 v9, v7 offset:15552
	s_wait_dscnt 0x0
	v_pk_add_f16 v10, v14, v9 neg_lo:[0,1] neg_hi:[0,1]
	v_pk_add_f16 v9, v9, v14
	s_delay_alu instid0(VALU_DEP_1) | instskip(SKIP_1) | instid1(VALU_DEP_2)
	v_bfi_b32 v11, 0xffff, v10, v9
	v_bfi_b32 v9, 0xffff, v9, v10
	v_pk_mul_f16 v11, v11, 0.5 op_sel_hi:[1,0]
	s_delay_alu instid0(VALU_DEP_2) | instskip(SKIP_1) | instid1(VALU_DEP_2)
	v_pk_mul_f16 v12, v9, 0.5 op_sel_hi:[1,0]
	s_wait_loadcnt 0x0
	v_pk_mul_f16 v10, v8, v11 op_sel:[1,0]
	v_pk_mul_f16 v8, v8, v11 op_sel_hi:[0,1]
	s_delay_alu instid0(VALU_DEP_3) | instskip(NEXT) | instid1(VALU_DEP_3)
	v_lshrrev_b32_e32 v11, 16, v12
	v_pk_fma_f16 v9, v9, 0.5, v10 op_sel_hi:[1,0,1]
	v_lshrrev_b32_e32 v13, 16, v10
	v_sub_f16_e32 v10, v12, v10
	v_lshrrev_b32_e32 v12, 16, v8
	s_delay_alu instid0(VALU_DEP_4) | instskip(SKIP_2) | instid1(VALU_DEP_4)
	v_pk_add_f16 v14, v9, v8 op_sel:[0,1] op_sel_hi:[1,0]
	v_pk_add_f16 v9, v9, v8 op_sel:[0,1] op_sel_hi:[1,0] neg_lo:[0,1] neg_hi:[0,1]
	v_sub_f16_e32 v11, v13, v11
	v_sub_f16_e32 v12, v10, v12
	s_delay_alu instid0(VALU_DEP_3) | instskip(NEXT) | instid1(VALU_DEP_3)
	v_bfi_b32 v13, 0xffff, v14, v9
	v_sub_f16_e32 v11, v11, v8
	v_dual_mov_b32 v10, v4 :: v_dual_mov_b32 v9, v3
                                        ; implicit-def: $vgpr14
.LBB0_17:
	s_wait_alu 0xfffe
	s_and_not1_saveexec_b32 s0, s1
	s_cbranch_execz .LBB0_19
; %bb.18:
	s_wait_dscnt 0x0
	v_lshrrev_b32_e32 v9, 16, v14
	v_mov_b32_e32 v11, 0
	s_wait_alu 0xfffe
	v_alignbit_b32 v8, s0, v14, 16
	s_delay_alu instid0(VALU_DEP_3) | instskip(SKIP_4) | instid1(VALU_DEP_1)
	v_sub_f16_e32 v12, v14, v9
	v_mov_b32_e32 v9, 0
	v_mov_b32_e32 v10, 0
	ds_load_u16 v4, v11 offset:7778
	v_pk_add_f16 v8, v8, v14
	v_pack_b32_f16 v13, v8, 0
	s_wait_dscnt 0x0
	v_xor_b32_e32 v4, 0x8000, v4
	ds_store_b16 v11, v4 offset:7778
.LBB0_19:
	s_wait_alu 0xfffe
	s_or_b32 exec_lo, exec_lo, s0
	v_lshlrev_b64_e32 v[8:9], 2, v[9:10]
	s_add_nc_u64 s[0:1], s[8:9], 0x3c80
	s_wait_alu 0xfffe
	s_delay_alu instid0(VALU_DEP_1) | instskip(SKIP_1) | instid1(VALU_DEP_2)
	v_add_co_u32 v8, s0, s0, v8
	s_wait_alu 0xf1ff
	v_add_co_ci_u32_e64 v9, s0, s1, v9, s0
	s_clause 0x1
	global_load_b32 v4, v[8:9], off offset:1296
	global_load_b32 v10, v[8:9], off offset:2592
	s_wait_dscnt 0x0
	s_clause 0x2
	global_load_b32 v14, v[8:9], off offset:3888
	global_load_b32 v15, v[8:9], off offset:5184
	;; [unrolled: 1-line block ×3, first 2 shown]
	ds_store_b16 v7, v11 offset:15554
	ds_store_b32 v0, v13
	ds_store_b16 v7, v12 offset:15552
	ds_load_b32 v9, v0 offset:1296
	ds_load_b32 v11, v7 offset:14256
	s_wait_dscnt 0x0
	v_pk_add_f16 v12, v9, v11 neg_lo:[0,1] neg_hi:[0,1]
	v_pk_add_f16 v9, v9, v11
	s_delay_alu instid0(VALU_DEP_1) | instskip(SKIP_1) | instid1(VALU_DEP_2)
	v_bfi_b32 v11, 0xffff, v12, v9
	v_bfi_b32 v9, 0xffff, v9, v12
	v_pk_mul_f16 v11, v11, 0.5 op_sel_hi:[1,0]
	s_delay_alu instid0(VALU_DEP_2) | instskip(NEXT) | instid1(VALU_DEP_1)
	v_pk_mul_f16 v12, v9, 0.5 op_sel_hi:[1,0]
	v_lshrrev_b32_e32 v16, 16, v12
	s_wait_loadcnt 0x4
	s_delay_alu instid0(VALU_DEP_3) | instskip(SKIP_1) | instid1(VALU_DEP_2)
	v_pk_mul_f16 v13, v4, v11 op_sel:[1,0]
	v_pk_mul_f16 v4, v4, v11 op_sel_hi:[0,1]
	v_lshrrev_b32_e32 v11, 16, v13
	v_pk_fma_f16 v9, v9, 0.5, v13 op_sel_hi:[1,0,1]
	v_sub_f16_e32 v12, v12, v13
	s_delay_alu instid0(VALU_DEP_3) | instskip(NEXT) | instid1(VALU_DEP_3)
	v_sub_f16_e32 v11, v11, v16
	v_pk_add_f16 v13, v9, v4 op_sel:[0,1] op_sel_hi:[1,0]
	v_pk_add_f16 v9, v9, v4 op_sel:[0,1] op_sel_hi:[1,0] neg_lo:[0,1] neg_hi:[0,1]
	v_lshrrev_b32_e32 v16, 16, v4
	s_delay_alu instid0(VALU_DEP_4) | instskip(NEXT) | instid1(VALU_DEP_3)
	v_sub_f16_e32 v4, v11, v4
	v_bfi_b32 v9, 0xffff, v13, v9
	s_delay_alu instid0(VALU_DEP_3)
	v_sub_f16_e32 v11, v12, v16
	ds_store_b16 v7, v4 offset:14258
	ds_store_b32 v0, v9 offset:1296
	ds_store_b16 v7, v11 offset:14256
	ds_load_b32 v4, v0 offset:2592
	ds_load_b32 v9, v7 offset:12960
	s_wait_dscnt 0x0
	v_pk_add_f16 v11, v4, v9 neg_lo:[0,1] neg_hi:[0,1]
	v_pk_add_f16 v4, v4, v9
	s_delay_alu instid0(VALU_DEP_1) | instskip(SKIP_1) | instid1(VALU_DEP_2)
	v_bfi_b32 v9, 0xffff, v11, v4
	v_bfi_b32 v4, 0xffff, v4, v11
	v_pk_mul_f16 v9, v9, 0.5 op_sel_hi:[1,0]
	s_delay_alu instid0(VALU_DEP_2) | instskip(SKIP_1) | instid1(VALU_DEP_2)
	v_pk_mul_f16 v11, v4, 0.5 op_sel_hi:[1,0]
	s_wait_loadcnt 0x3
	v_pk_mul_f16 v12, v10, v9 op_sel:[1,0]
	v_pk_mul_f16 v9, v10, v9 op_sel_hi:[0,1]
	s_delay_alu instid0(VALU_DEP_3) | instskip(NEXT) | instid1(VALU_DEP_3)
	v_lshrrev_b32_e32 v10, 16, v11
	v_lshrrev_b32_e32 v13, 16, v12
	v_pk_fma_f16 v4, v4, 0.5, v12 op_sel_hi:[1,0,1]
	v_sub_f16_e32 v11, v11, v12
	s_delay_alu instid0(VALU_DEP_3) | instskip(NEXT) | instid1(VALU_DEP_3)
	v_sub_f16_e32 v10, v13, v10
	v_pk_add_f16 v12, v4, v9 op_sel:[0,1] op_sel_hi:[1,0]
	v_pk_add_f16 v4, v4, v9 op_sel:[0,1] op_sel_hi:[1,0] neg_lo:[0,1] neg_hi:[0,1]
	v_lshrrev_b32_e32 v13, 16, v9
	s_delay_alu instid0(VALU_DEP_4) | instskip(NEXT) | instid1(VALU_DEP_3)
	v_sub_f16_e32 v9, v10, v9
	v_bfi_b32 v4, 0xffff, v12, v4
	s_delay_alu instid0(VALU_DEP_3)
	v_sub_f16_e32 v10, v11, v13
	ds_store_b16 v7, v9 offset:12962
	ds_store_b32 v0, v4 offset:2592
	ds_store_b16 v7, v10 offset:12960
	ds_load_b32 v4, v0 offset:3888
	ds_load_b32 v9, v7 offset:11664
	s_wait_dscnt 0x0
	v_pk_add_f16 v10, v4, v9 neg_lo:[0,1] neg_hi:[0,1]
	v_pk_add_f16 v4, v4, v9
	s_delay_alu instid0(VALU_DEP_1) | instskip(SKIP_1) | instid1(VALU_DEP_2)
	v_bfi_b32 v9, 0xffff, v10, v4
	v_bfi_b32 v4, 0xffff, v4, v10
	v_pk_mul_f16 v9, v9, 0.5 op_sel_hi:[1,0]
	s_delay_alu instid0(VALU_DEP_2) | instskip(SKIP_1) | instid1(VALU_DEP_2)
	v_pk_mul_f16 v10, v4, 0.5 op_sel_hi:[1,0]
	s_wait_loadcnt 0x2
	v_pk_mul_f16 v11, v14, v9 op_sel:[1,0]
	s_delay_alu instid0(VALU_DEP_2) | instskip(SKIP_1) | instid1(VALU_DEP_3)
	v_lshrrev_b32_e32 v12, 16, v10
	v_pk_mul_f16 v9, v14, v9 op_sel_hi:[0,1]
	v_lshrrev_b32_e32 v13, 16, v11
	v_pk_fma_f16 v4, v4, 0.5, v11 op_sel_hi:[1,0,1]
	v_sub_f16_e32 v10, v10, v11
	s_delay_alu instid0(VALU_DEP_3) | instskip(NEXT) | instid1(VALU_DEP_3)
	v_sub_f16_e32 v12, v13, v12
	v_pk_add_f16 v11, v4, v9 op_sel:[0,1] op_sel_hi:[1,0]
	v_pk_add_f16 v4, v4, v9 op_sel:[0,1] op_sel_hi:[1,0] neg_lo:[0,1] neg_hi:[0,1]
	v_lshrrev_b32_e32 v13, 16, v9
	s_delay_alu instid0(VALU_DEP_4) | instskip(NEXT) | instid1(VALU_DEP_3)
	v_sub_f16_e32 v9, v12, v9
	v_bfi_b32 v4, 0xffff, v11, v4
	s_delay_alu instid0(VALU_DEP_3)
	v_sub_f16_e32 v10, v10, v13
	ds_store_b16 v7, v9 offset:11666
	ds_store_b32 v0, v4 offset:3888
	ds_store_b16 v7, v10 offset:11664
	ds_load_b32 v4, v0 offset:5184
	ds_load_b32 v9, v7 offset:10368
	s_wait_dscnt 0x0
	v_pk_add_f16 v10, v4, v9 neg_lo:[0,1] neg_hi:[0,1]
	v_pk_add_f16 v4, v4, v9
	s_delay_alu instid0(VALU_DEP_1) | instskip(SKIP_1) | instid1(VALU_DEP_2)
	v_bfi_b32 v9, 0xffff, v10, v4
	v_bfi_b32 v4, 0xffff, v4, v10
	v_pk_mul_f16 v9, v9, 0.5 op_sel_hi:[1,0]
	s_delay_alu instid0(VALU_DEP_2) | instskip(SKIP_1) | instid1(VALU_DEP_2)
	v_pk_mul_f16 v10, v4, 0.5 op_sel_hi:[1,0]
	s_wait_loadcnt 0x1
	v_pk_mul_f16 v11, v15, v9 op_sel:[1,0]
	s_delay_alu instid0(VALU_DEP_2) | instskip(SKIP_1) | instid1(VALU_DEP_3)
	v_lshrrev_b32_e32 v12, 16, v10
	v_pk_mul_f16 v9, v15, v9 op_sel_hi:[0,1]
	v_lshrrev_b32_e32 v13, 16, v11
	v_pk_fma_f16 v4, v4, 0.5, v11 op_sel_hi:[1,0,1]
	v_sub_f16_e32 v10, v10, v11
	s_delay_alu instid0(VALU_DEP_3) | instskip(NEXT) | instid1(VALU_DEP_3)
	v_sub_f16_e32 v12, v13, v12
	v_pk_add_f16 v11, v4, v9 op_sel:[0,1] op_sel_hi:[1,0]
	v_pk_add_f16 v4, v4, v9 op_sel:[0,1] op_sel_hi:[1,0] neg_lo:[0,1] neg_hi:[0,1]
	v_lshrrev_b32_e32 v13, 16, v9
	s_delay_alu instid0(VALU_DEP_4) | instskip(NEXT) | instid1(VALU_DEP_3)
	v_sub_f16_e32 v9, v12, v9
	v_bfi_b32 v4, 0xffff, v11, v4
	s_delay_alu instid0(VALU_DEP_3)
	v_sub_f16_e32 v10, v10, v13
	ds_store_b16 v7, v9 offset:10370
	ds_store_b32 v0, v4 offset:5184
	ds_store_b16 v7, v10 offset:10368
	ds_load_b32 v4, v0 offset:6480
	ds_load_b32 v9, v7 offset:9072
	s_wait_dscnt 0x0
	v_pk_add_f16 v10, v4, v9 neg_lo:[0,1] neg_hi:[0,1]
	v_pk_add_f16 v4, v4, v9
	s_delay_alu instid0(VALU_DEP_1) | instskip(SKIP_1) | instid1(VALU_DEP_2)
	v_bfi_b32 v9, 0xffff, v10, v4
	v_bfi_b32 v4, 0xffff, v4, v10
	v_pk_mul_f16 v9, v9, 0.5 op_sel_hi:[1,0]
	s_delay_alu instid0(VALU_DEP_2) | instskip(SKIP_1) | instid1(VALU_DEP_2)
	v_pk_mul_f16 v4, v4, 0.5 op_sel_hi:[1,0]
	s_wait_loadcnt 0x0
	v_pk_mul_f16 v11, v8, v9 op_sel_hi:[0,1]
	s_delay_alu instid0(VALU_DEP_2) | instskip(SKIP_2) | instid1(VALU_DEP_3)
	v_pk_fma_f16 v10, v8, v9, v4 op_sel:[1,0,0]
	v_pk_fma_f16 v12, v8, v9, v4 op_sel:[1,0,0] neg_lo:[1,0,0] neg_hi:[1,0,0]
	v_pk_fma_f16 v4, v8, v9, v4 op_sel:[1,0,0] neg_lo:[0,0,1] neg_hi:[0,0,1]
	v_pk_add_f16 v8, v10, v11 op_sel:[0,1] op_sel_hi:[1,0]
	v_pk_add_f16 v9, v10, v11 op_sel:[0,1] op_sel_hi:[1,0] neg_lo:[0,1] neg_hi:[0,1]
	s_delay_alu instid0(VALU_DEP_4) | instskip(NEXT) | instid1(VALU_DEP_4)
	v_pk_add_f16 v10, v12, v11 op_sel:[0,1] op_sel_hi:[1,0] neg_lo:[0,1] neg_hi:[0,1]
	v_pk_add_f16 v4, v4, v11 op_sel:[0,1] op_sel_hi:[1,0] neg_lo:[0,1] neg_hi:[0,1]
	s_delay_alu instid0(VALU_DEP_3) | instskip(NEXT) | instid1(VALU_DEP_2)
	v_bfi_b32 v8, 0xffff, v8, v9
	v_bfi_b32 v4, 0xffff, v10, v4
	ds_store_b32 v0, v8 offset:6480
	ds_store_b32 v7, v4 offset:9072
	global_wb scope:SCOPE_SE
	s_wait_dscnt 0x0
	s_barrier_signal -1
	s_barrier_wait -1
	global_inv scope:SCOPE_SE
	s_and_saveexec_b32 s0, vcc_lo
	s_cbranch_execz .LBB0_22
; %bb.20:
	v_mul_lo_u32 v0, s3, v5
	v_mul_lo_u32 v7, s2, v6
	v_mad_co_u64_u32 v[5:6], null, s2, v5, 0
	v_mov_b32_e32 v4, 0
	v_lshl_add_u32 v23, v3, 2, 0
	v_add_nc_u32_e32 v17, 0x798, v3
	v_add_nc_u32_e32 v19, 0x8dc, v3
	;; [unrolled: 1-line block ×3, first 2 shown]
	v_add3_u32 v6, v6, v7, v0
	v_add_nc_u32_e32 v7, 0x144, v3
	v_lshlrev_b64_e32 v[0:1], 2, v[1:2]
	v_dual_mov_b32 v8, v4 :: v_dual_add_nc_u32 v9, 0x288, v3
	s_delay_alu instid0(VALU_DEP_4)
	v_lshlrev_b64_e32 v[5:6], 2, v[5:6]
	v_lshlrev_b64_e32 v[13:14], 2, v[3:4]
	v_dual_mov_b32 v10, v4 :: v_dual_add_nc_u32 v11, 0x3cc, v3
	v_mov_b32_e32 v12, v4
	v_mov_b32_e32 v16, v4
	v_add_co_u32 v2, vcc_lo, s6, v5
	s_wait_alu 0xfffd
	v_add_co_ci_u32_e32 v15, vcc_lo, s7, v6, vcc_lo
	v_lshlrev_b64_e32 v[5:6], 2, v[7:8]
	s_delay_alu instid0(VALU_DEP_3) | instskip(SKIP_1) | instid1(VALU_DEP_3)
	v_add_co_u32 v0, vcc_lo, v2, v0
	s_wait_alu 0xfffd
	v_add_co_ci_u32_e32 v1, vcc_lo, v15, v1, vcc_lo
	v_lshlrev_b64_e32 v[7:8], 2, v[9:10]
	s_delay_alu instid0(VALU_DEP_3) | instskip(SKIP_1) | instid1(VALU_DEP_3)
	v_add_co_u32 v9, vcc_lo, v0, v13
	s_wait_alu 0xfffd
	v_add_co_ci_u32_e32 v10, vcc_lo, v1, v14, vcc_lo
	v_dual_mov_b32 v14, v4 :: v_dual_add_nc_u32 v13, 0x510, v3
	v_add_nc_u32_e32 v15, 0x654, v3
	v_add_co_u32 v5, vcc_lo, v0, v5
	v_lshlrev_b64_e32 v[11:12], 2, v[11:12]
	ds_load_b32 v2, v23
	ds_load_b32 v24, v23 offset:1296
	ds_load_b32 v25, v23 offset:2592
	;; [unrolled: 1-line block ×7, first 2 shown]
	s_wait_alu 0xfffd
	v_add_co_ci_u32_e32 v6, vcc_lo, v1, v6, vcc_lo
	v_add_co_u32 v7, vcc_lo, v0, v7
	v_lshlrev_b64_e32 v[13:14], 2, v[13:14]
	v_mov_b32_e32 v18, v4
	s_wait_alu 0xfffd
	v_add_co_ci_u32_e32 v8, vcc_lo, v1, v8, vcc_lo
	v_add_co_u32 v11, vcc_lo, v0, v11
	v_lshlrev_b64_e32 v[15:16], 2, v[15:16]
	v_mov_b32_e32 v20, v4
	s_wait_alu 0xfffd
	v_add_co_ci_u32_e32 v12, vcc_lo, v1, v12, vcc_lo
	v_add_co_u32 v13, vcc_lo, v0, v13
	v_lshlrev_b64_e32 v[17:18], 2, v[17:18]
	s_wait_alu 0xfffd
	v_add_co_ci_u32_e32 v14, vcc_lo, v1, v14, vcc_lo
	v_add_co_u32 v15, vcc_lo, v0, v15
	v_lshlrev_b64_e32 v[19:20], 2, v[19:20]
	s_wait_alu 0xfffd
	v_add_co_ci_u32_e32 v16, vcc_lo, v1, v16, vcc_lo
	v_add_co_u32 v17, vcc_lo, v0, v17
	s_wait_alu 0xfffd
	v_add_co_ci_u32_e32 v18, vcc_lo, v1, v18, vcc_lo
	v_mov_b32_e32 v22, v4
	v_add_co_u32 v19, vcc_lo, v0, v19
	s_wait_alu 0xfffd
	v_add_co_ci_u32_e32 v20, vcc_lo, v1, v20, vcc_lo
	s_wait_dscnt 0x7
	global_store_b32 v[9:10], v2, off
	s_wait_dscnt 0x6
	global_store_b32 v[5:6], v24, off
	;; [unrolled: 2-line block ×8, first 2 shown]
	v_dual_mov_b32 v8, v4 :: v_dual_add_nc_u32 v7, 0xb64, v3
	v_add_nc_u32_e32 v9, 0xca8, v3
	v_lshlrev_b64_e32 v[5:6], 2, v[21:22]
	v_dual_mov_b32 v10, v4 :: v_dual_add_nc_u32 v11, 0xdec, v3
	s_delay_alu instid0(VALU_DEP_4)
	v_lshlrev_b64_e32 v[7:8], 2, v[7:8]
	ds_load_b32 v2, v23 offset:10368
	ds_load_b32 v13, v23 offset:11664
	;; [unrolled: 1-line block ×4, first 2 shown]
	v_mov_b32_e32 v12, v4
	v_add_co_u32 v5, vcc_lo, v0, v5
	v_lshlrev_b64_e32 v[9:10], 2, v[9:10]
	s_wait_alu 0xfffd
	v_add_co_ci_u32_e32 v6, vcc_lo, v1, v6, vcc_lo
	v_add_co_u32 v7, vcc_lo, v0, v7
	v_lshlrev_b64_e32 v[11:12], 2, v[11:12]
	s_wait_alu 0xfffd
	v_add_co_ci_u32_e32 v8, vcc_lo, v1, v8, vcc_lo
	v_add_co_u32 v9, vcc_lo, v0, v9
	s_wait_alu 0xfffd
	v_add_co_ci_u32_e32 v10, vcc_lo, v1, v10, vcc_lo
	v_add_co_u32 v11, vcc_lo, v0, v11
	s_wait_alu 0xfffd
	v_add_co_ci_u32_e32 v12, vcc_lo, v1, v12, vcc_lo
	v_cmp_eq_u32_e32 vcc_lo, 0x143, v3
	s_wait_dscnt 0x3
	global_store_b32 v[5:6], v2, off
	s_wait_dscnt 0x2
	global_store_b32 v[7:8], v13, off
	;; [unrolled: 2-line block ×4, first 2 shown]
	s_and_b32 exec_lo, exec_lo, vcc_lo
	s_cbranch_execz .LBB0_22
; %bb.21:
	ds_load_b32 v2, v4 offset:15552
	s_wait_dscnt 0x0
	global_store_b32 v[0:1], v2, off offset:15552
.LBB0_22:
	s_nop 0
	s_sendmsg sendmsg(MSG_DEALLOC_VGPRS)
	s_endpgm
	.section	.rodata,"a",@progbits
	.p2align	6, 0x0
	.amdhsa_kernel fft_rtc_fwd_len3888_factors_16_3_3_3_3_3_wgs_324_tpt_324_halfLds_half_op_CI_CI_unitstride_sbrr_R2C_dirReg
		.amdhsa_group_segment_fixed_size 0
		.amdhsa_private_segment_fixed_size 0
		.amdhsa_kernarg_size 104
		.amdhsa_user_sgpr_count 2
		.amdhsa_user_sgpr_dispatch_ptr 0
		.amdhsa_user_sgpr_queue_ptr 0
		.amdhsa_user_sgpr_kernarg_segment_ptr 1
		.amdhsa_user_sgpr_dispatch_id 0
		.amdhsa_user_sgpr_private_segment_size 0
		.amdhsa_wavefront_size32 1
		.amdhsa_uses_dynamic_stack 0
		.amdhsa_enable_private_segment 0
		.amdhsa_system_sgpr_workgroup_id_x 1
		.amdhsa_system_sgpr_workgroup_id_y 0
		.amdhsa_system_sgpr_workgroup_id_z 0
		.amdhsa_system_sgpr_workgroup_info 0
		.amdhsa_system_vgpr_workitem_id 0
		.amdhsa_next_free_vgpr 72
		.amdhsa_next_free_sgpr 39
		.amdhsa_reserve_vcc 1
		.amdhsa_float_round_mode_32 0
		.amdhsa_float_round_mode_16_64 0
		.amdhsa_float_denorm_mode_32 3
		.amdhsa_float_denorm_mode_16_64 3
		.amdhsa_fp16_overflow 0
		.amdhsa_workgroup_processor_mode 1
		.amdhsa_memory_ordered 1
		.amdhsa_forward_progress 0
		.amdhsa_round_robin_scheduling 0
		.amdhsa_exception_fp_ieee_invalid_op 0
		.amdhsa_exception_fp_denorm_src 0
		.amdhsa_exception_fp_ieee_div_zero 0
		.amdhsa_exception_fp_ieee_overflow 0
		.amdhsa_exception_fp_ieee_underflow 0
		.amdhsa_exception_fp_ieee_inexact 0
		.amdhsa_exception_int_div_zero 0
	.end_amdhsa_kernel
	.text
.Lfunc_end0:
	.size	fft_rtc_fwd_len3888_factors_16_3_3_3_3_3_wgs_324_tpt_324_halfLds_half_op_CI_CI_unitstride_sbrr_R2C_dirReg, .Lfunc_end0-fft_rtc_fwd_len3888_factors_16_3_3_3_3_3_wgs_324_tpt_324_halfLds_half_op_CI_CI_unitstride_sbrr_R2C_dirReg
                                        ; -- End function
	.section	.AMDGPU.csdata,"",@progbits
; Kernel info:
; codeLenInByte = 11332
; NumSgprs: 41
; NumVgprs: 72
; ScratchSize: 0
; MemoryBound: 0
; FloatMode: 240
; IeeeMode: 1
; LDSByteSize: 0 bytes/workgroup (compile time only)
; SGPRBlocks: 5
; VGPRBlocks: 8
; NumSGPRsForWavesPerEU: 41
; NumVGPRsForWavesPerEU: 72
; Occupancy: 14
; WaveLimiterHint : 1
; COMPUTE_PGM_RSRC2:SCRATCH_EN: 0
; COMPUTE_PGM_RSRC2:USER_SGPR: 2
; COMPUTE_PGM_RSRC2:TRAP_HANDLER: 0
; COMPUTE_PGM_RSRC2:TGID_X_EN: 1
; COMPUTE_PGM_RSRC2:TGID_Y_EN: 0
; COMPUTE_PGM_RSRC2:TGID_Z_EN: 0
; COMPUTE_PGM_RSRC2:TIDIG_COMP_CNT: 0
	.text
	.p2alignl 7, 3214868480
	.fill 96, 4, 3214868480
	.type	__hip_cuid_dffd15692a2043ff,@object ; @__hip_cuid_dffd15692a2043ff
	.section	.bss,"aw",@nobits
	.globl	__hip_cuid_dffd15692a2043ff
__hip_cuid_dffd15692a2043ff:
	.byte	0                               ; 0x0
	.size	__hip_cuid_dffd15692a2043ff, 1

	.ident	"AMD clang version 19.0.0git (https://github.com/RadeonOpenCompute/llvm-project roc-6.4.0 25133 c7fe45cf4b819c5991fe208aaa96edf142730f1d)"
	.section	".note.GNU-stack","",@progbits
	.addrsig
	.addrsig_sym __hip_cuid_dffd15692a2043ff
	.amdgpu_metadata
---
amdhsa.kernels:
  - .args:
      - .actual_access:  read_only
        .address_space:  global
        .offset:         0
        .size:           8
        .value_kind:     global_buffer
      - .offset:         8
        .size:           8
        .value_kind:     by_value
      - .actual_access:  read_only
        .address_space:  global
        .offset:         16
        .size:           8
        .value_kind:     global_buffer
      - .actual_access:  read_only
        .address_space:  global
        .offset:         24
        .size:           8
        .value_kind:     global_buffer
      - .actual_access:  read_only
        .address_space:  global
        .offset:         32
        .size:           8
        .value_kind:     global_buffer
      - .offset:         40
        .size:           8
        .value_kind:     by_value
      - .actual_access:  read_only
        .address_space:  global
        .offset:         48
        .size:           8
        .value_kind:     global_buffer
      - .actual_access:  read_only
        .address_space:  global
        .offset:         56
        .size:           8
        .value_kind:     global_buffer
      - .offset:         64
        .size:           4
        .value_kind:     by_value
      - .actual_access:  read_only
        .address_space:  global
        .offset:         72
        .size:           8
        .value_kind:     global_buffer
      - .actual_access:  read_only
        .address_space:  global
        .offset:         80
        .size:           8
        .value_kind:     global_buffer
      - .actual_access:  read_only
        .address_space:  global
        .offset:         88
        .size:           8
        .value_kind:     global_buffer
      - .actual_access:  write_only
        .address_space:  global
        .offset:         96
        .size:           8
        .value_kind:     global_buffer
    .group_segment_fixed_size: 0
    .kernarg_segment_align: 8
    .kernarg_segment_size: 104
    .language:       OpenCL C
    .language_version:
      - 2
      - 0
    .max_flat_workgroup_size: 324
    .name:           fft_rtc_fwd_len3888_factors_16_3_3_3_3_3_wgs_324_tpt_324_halfLds_half_op_CI_CI_unitstride_sbrr_R2C_dirReg
    .private_segment_fixed_size: 0
    .sgpr_count:     41
    .sgpr_spill_count: 0
    .symbol:         fft_rtc_fwd_len3888_factors_16_3_3_3_3_3_wgs_324_tpt_324_halfLds_half_op_CI_CI_unitstride_sbrr_R2C_dirReg.kd
    .uniform_work_group_size: 1
    .uses_dynamic_stack: false
    .vgpr_count:     72
    .vgpr_spill_count: 0
    .wavefront_size: 32
    .workgroup_processor_mode: 1
amdhsa.target:   amdgcn-amd-amdhsa--gfx1201
amdhsa.version:
  - 1
  - 2
...

	.end_amdgpu_metadata
